;; amdgpu-corpus repo=ROCm/rocFFT kind=compiled arch=gfx1030 opt=O3
	.text
	.amdgcn_target "amdgcn-amd-amdhsa--gfx1030"
	.amdhsa_code_object_version 6
	.protected	fft_rtc_fwd_len1210_factors_2_5_11_11_wgs_110_tpt_110_halfLds_half_op_CI_CI_unitstride_sbrr_dirReg ; -- Begin function fft_rtc_fwd_len1210_factors_2_5_11_11_wgs_110_tpt_110_halfLds_half_op_CI_CI_unitstride_sbrr_dirReg
	.globl	fft_rtc_fwd_len1210_factors_2_5_11_11_wgs_110_tpt_110_halfLds_half_op_CI_CI_unitstride_sbrr_dirReg
	.p2align	8
	.type	fft_rtc_fwd_len1210_factors_2_5_11_11_wgs_110_tpt_110_halfLds_half_op_CI_CI_unitstride_sbrr_dirReg,@function
fft_rtc_fwd_len1210_factors_2_5_11_11_wgs_110_tpt_110_halfLds_half_op_CI_CI_unitstride_sbrr_dirReg: ; @fft_rtc_fwd_len1210_factors_2_5_11_11_wgs_110_tpt_110_halfLds_half_op_CI_CI_unitstride_sbrr_dirReg
; %bb.0:
	s_clause 0x2
	s_load_dwordx4 s[12:15], s[4:5], 0x0
	s_load_dwordx4 s[8:11], s[4:5], 0x58
	;; [unrolled: 1-line block ×3, first 2 shown]
	v_mul_u32_u24_e32 v1, 0x254, v0
	v_mov_b32_e32 v3, 0
	v_add_nc_u32_sdwa v5, s6, v1 dst_sel:DWORD dst_unused:UNUSED_PAD src0_sel:DWORD src1_sel:WORD_1
	v_mov_b32_e32 v1, 0
	v_mov_b32_e32 v6, v3
	v_mov_b32_e32 v2, 0
	s_waitcnt lgkmcnt(0)
	v_cmp_lt_u64_e64 s0, s[14:15], 2
	s_and_b32 vcc_lo, exec_lo, s0
	s_cbranch_vccnz .LBB0_8
; %bb.1:
	s_load_dwordx2 s[0:1], s[4:5], 0x10
	v_mov_b32_e32 v1, 0
	v_mov_b32_e32 v2, 0
	s_add_u32 s2, s18, 8
	s_addc_u32 s3, s19, 0
	s_add_u32 s6, s16, 8
	s_addc_u32 s7, s17, 0
	v_mov_b32_e32 v9, v2
	v_mov_b32_e32 v8, v1
	s_mov_b64 s[22:23], 1
	s_waitcnt lgkmcnt(0)
	s_add_u32 s20, s0, 8
	s_addc_u32 s21, s1, 0
.LBB0_2:                                ; =>This Inner Loop Header: Depth=1
	s_load_dwordx2 s[24:25], s[20:21], 0x0
                                        ; implicit-def: $vgpr11_vgpr12
	s_mov_b32 s0, exec_lo
	s_waitcnt lgkmcnt(0)
	v_or_b32_e32 v4, s25, v6
	v_cmpx_ne_u64_e32 0, v[3:4]
	s_xor_b32 s1, exec_lo, s0
	s_cbranch_execz .LBB0_4
; %bb.3:                                ;   in Loop: Header=BB0_2 Depth=1
	v_cvt_f32_u32_e32 v4, s24
	v_cvt_f32_u32_e32 v7, s25
	s_sub_u32 s0, 0, s24
	s_subb_u32 s26, 0, s25
	v_fmac_f32_e32 v4, 0x4f800000, v7
	v_rcp_f32_e32 v4, v4
	v_mul_f32_e32 v4, 0x5f7ffffc, v4
	v_mul_f32_e32 v7, 0x2f800000, v4
	v_trunc_f32_e32 v7, v7
	v_fmac_f32_e32 v4, 0xcf800000, v7
	v_cvt_u32_f32_e32 v7, v7
	v_cvt_u32_f32_e32 v4, v4
	v_mul_lo_u32 v10, s0, v7
	v_mul_hi_u32 v11, s0, v4
	v_mul_lo_u32 v12, s26, v4
	v_add_nc_u32_e32 v10, v11, v10
	v_mul_lo_u32 v11, s0, v4
	v_add_nc_u32_e32 v10, v10, v12
	v_mul_hi_u32 v12, v4, v11
	v_mul_lo_u32 v13, v4, v10
	v_mul_hi_u32 v14, v4, v10
	v_mul_hi_u32 v15, v7, v11
	v_mul_lo_u32 v11, v7, v11
	v_mul_hi_u32 v16, v7, v10
	v_mul_lo_u32 v10, v7, v10
	v_add_co_u32 v12, vcc_lo, v12, v13
	v_add_co_ci_u32_e32 v13, vcc_lo, 0, v14, vcc_lo
	v_add_co_u32 v11, vcc_lo, v12, v11
	v_add_co_ci_u32_e32 v11, vcc_lo, v13, v15, vcc_lo
	v_add_co_ci_u32_e32 v12, vcc_lo, 0, v16, vcc_lo
	v_add_co_u32 v10, vcc_lo, v11, v10
	v_add_co_ci_u32_e32 v11, vcc_lo, 0, v12, vcc_lo
	v_add_co_u32 v4, vcc_lo, v4, v10
	v_add_co_ci_u32_e32 v7, vcc_lo, v7, v11, vcc_lo
	v_mul_hi_u32 v10, s0, v4
	v_mul_lo_u32 v12, s26, v4
	v_mul_lo_u32 v11, s0, v7
	v_add_nc_u32_e32 v10, v10, v11
	v_mul_lo_u32 v11, s0, v4
	v_add_nc_u32_e32 v10, v10, v12
	v_mul_hi_u32 v12, v4, v11
	v_mul_lo_u32 v13, v4, v10
	v_mul_hi_u32 v14, v4, v10
	v_mul_hi_u32 v15, v7, v11
	v_mul_lo_u32 v11, v7, v11
	v_mul_hi_u32 v16, v7, v10
	v_mul_lo_u32 v10, v7, v10
	v_add_co_u32 v12, vcc_lo, v12, v13
	v_add_co_ci_u32_e32 v13, vcc_lo, 0, v14, vcc_lo
	v_add_co_u32 v11, vcc_lo, v12, v11
	v_add_co_ci_u32_e32 v11, vcc_lo, v13, v15, vcc_lo
	v_add_co_ci_u32_e32 v12, vcc_lo, 0, v16, vcc_lo
	v_add_co_u32 v10, vcc_lo, v11, v10
	v_add_co_ci_u32_e32 v11, vcc_lo, 0, v12, vcc_lo
	v_add_co_u32 v4, vcc_lo, v4, v10
	v_add_co_ci_u32_e32 v7, vcc_lo, v7, v11, vcc_lo
	v_mul_hi_u32 v16, v5, v4
	v_mad_u64_u32 v[12:13], null, v6, v4, 0
	v_mad_u64_u32 v[10:11], null, v5, v7, 0
	;; [unrolled: 1-line block ×3, first 2 shown]
	v_add_co_u32 v4, vcc_lo, v16, v10
	v_add_co_ci_u32_e32 v7, vcc_lo, 0, v11, vcc_lo
	v_add_co_u32 v4, vcc_lo, v4, v12
	v_add_co_ci_u32_e32 v4, vcc_lo, v7, v13, vcc_lo
	v_add_co_ci_u32_e32 v7, vcc_lo, 0, v15, vcc_lo
	v_add_co_u32 v4, vcc_lo, v4, v14
	v_add_co_ci_u32_e32 v7, vcc_lo, 0, v7, vcc_lo
	v_mul_lo_u32 v12, s25, v4
	v_mad_u64_u32 v[10:11], null, s24, v4, 0
	v_mul_lo_u32 v13, s24, v7
	v_sub_co_u32 v10, vcc_lo, v5, v10
	v_add3_u32 v11, v11, v13, v12
	v_sub_nc_u32_e32 v12, v6, v11
	v_subrev_co_ci_u32_e64 v12, s0, s25, v12, vcc_lo
	v_add_co_u32 v13, s0, v4, 2
	v_add_co_ci_u32_e64 v14, s0, 0, v7, s0
	v_sub_co_u32 v15, s0, v10, s24
	v_sub_co_ci_u32_e32 v11, vcc_lo, v6, v11, vcc_lo
	v_subrev_co_ci_u32_e64 v12, s0, 0, v12, s0
	v_cmp_le_u32_e32 vcc_lo, s24, v15
	v_cmp_eq_u32_e64 s0, s25, v11
	v_cndmask_b32_e64 v15, 0, -1, vcc_lo
	v_cmp_le_u32_e32 vcc_lo, s25, v12
	v_cndmask_b32_e64 v16, 0, -1, vcc_lo
	v_cmp_le_u32_e32 vcc_lo, s24, v10
	;; [unrolled: 2-line block ×3, first 2 shown]
	v_cndmask_b32_e64 v17, 0, -1, vcc_lo
	v_cmp_eq_u32_e32 vcc_lo, s25, v12
	v_cndmask_b32_e64 v10, v17, v10, s0
	v_cndmask_b32_e32 v12, v16, v15, vcc_lo
	v_add_co_u32 v15, vcc_lo, v4, 1
	v_add_co_ci_u32_e32 v16, vcc_lo, 0, v7, vcc_lo
	v_cmp_ne_u32_e32 vcc_lo, 0, v12
	v_cndmask_b32_e32 v11, v16, v14, vcc_lo
	v_cndmask_b32_e32 v13, v15, v13, vcc_lo
	v_cmp_ne_u32_e32 vcc_lo, 0, v10
	v_cndmask_b32_e32 v12, v7, v11, vcc_lo
	v_cndmask_b32_e32 v11, v4, v13, vcc_lo
.LBB0_4:                                ;   in Loop: Header=BB0_2 Depth=1
	s_andn2_saveexec_b32 s0, s1
	s_cbranch_execz .LBB0_6
; %bb.5:                                ;   in Loop: Header=BB0_2 Depth=1
	v_cvt_f32_u32_e32 v4, s24
	s_sub_i32 s1, 0, s24
	v_mov_b32_e32 v12, v3
	v_rcp_iflag_f32_e32 v4, v4
	v_mul_f32_e32 v4, 0x4f7ffffe, v4
	v_cvt_u32_f32_e32 v4, v4
	v_mul_lo_u32 v7, s1, v4
	v_mul_hi_u32 v7, v4, v7
	v_add_nc_u32_e32 v4, v4, v7
	v_mul_hi_u32 v4, v5, v4
	v_mul_lo_u32 v7, v4, s24
	v_add_nc_u32_e32 v10, 1, v4
	v_sub_nc_u32_e32 v7, v5, v7
	v_subrev_nc_u32_e32 v11, s24, v7
	v_cmp_le_u32_e32 vcc_lo, s24, v7
	v_cndmask_b32_e32 v7, v7, v11, vcc_lo
	v_cndmask_b32_e32 v4, v4, v10, vcc_lo
	v_cmp_le_u32_e32 vcc_lo, s24, v7
	v_add_nc_u32_e32 v10, 1, v4
	v_cndmask_b32_e32 v11, v4, v10, vcc_lo
.LBB0_6:                                ;   in Loop: Header=BB0_2 Depth=1
	s_or_b32 exec_lo, exec_lo, s0
	v_mul_lo_u32 v4, v12, s24
	v_mul_lo_u32 v7, v11, s25
	s_load_dwordx2 s[0:1], s[6:7], 0x0
	v_mad_u64_u32 v[13:14], null, v11, s24, 0
	s_load_dwordx2 s[24:25], s[2:3], 0x0
	s_add_u32 s22, s22, 1
	s_addc_u32 s23, s23, 0
	s_add_u32 s2, s2, 8
	s_addc_u32 s3, s3, 0
	s_add_u32 s6, s6, 8
	v_add3_u32 v4, v14, v7, v4
	v_sub_co_u32 v5, vcc_lo, v5, v13
	s_addc_u32 s7, s7, 0
	s_add_u32 s20, s20, 8
	v_sub_co_ci_u32_e32 v4, vcc_lo, v6, v4, vcc_lo
	s_addc_u32 s21, s21, 0
	s_waitcnt lgkmcnt(0)
	v_mul_lo_u32 v6, s0, v4
	v_mul_lo_u32 v7, s1, v5
	v_mad_u64_u32 v[1:2], null, s0, v5, v[1:2]
	v_mul_lo_u32 v4, s24, v4
	v_mul_lo_u32 v10, s25, v5
	v_mad_u64_u32 v[8:9], null, s24, v5, v[8:9]
	v_cmp_ge_u64_e64 s0, s[22:23], s[14:15]
	v_add3_u32 v2, v7, v2, v6
	v_add3_u32 v9, v10, v9, v4
	s_and_b32 vcc_lo, exec_lo, s0
	s_cbranch_vccnz .LBB0_9
; %bb.7:                                ;   in Loop: Header=BB0_2 Depth=1
	v_mov_b32_e32 v5, v11
	v_mov_b32_e32 v6, v12
	s_branch .LBB0_2
.LBB0_8:
	v_mov_b32_e32 v9, v2
	v_mov_b32_e32 v12, v6
	;; [unrolled: 1-line block ×4, first 2 shown]
.LBB0_9:
	s_load_dwordx2 s[0:1], s[4:5], 0x28
	v_mul_hi_u32 v22, 0x253c826, v0
	s_lshl_b64 s[4:5], s[14:15], 3
                                        ; implicit-def: $sgpr6
                                        ; implicit-def: $sgpr7
                                        ; implicit-def: $vgpr16
	s_add_u32 s2, s18, s4
	s_addc_u32 s3, s19, s5
	s_waitcnt lgkmcnt(0)
	v_cmp_gt_u64_e32 vcc_lo, s[0:1], v[11:12]
	v_cmp_le_u64_e64 s0, s[0:1], v[11:12]
	s_and_saveexec_b32 s1, s0
	s_xor_b32 s0, exec_lo, s1
; %bb.10:
	v_mul_u32_u24_e32 v1, 0x6e, v22
	s_mov_b32 s7, 0
	s_mov_b32 s6, 0
                                        ; implicit-def: $vgpr22
	v_sub_nc_u32_e32 v16, v0, v1
                                        ; implicit-def: $vgpr0
                                        ; implicit-def: $vgpr1_vgpr2
; %bb.11:
	s_or_saveexec_b32 s1, s0
	s_load_dwordx2 s[2:3], s[2:3], 0x0
	v_mov_b32_e32 v29, s7
	v_mov_b32_e32 v10, s6
	;; [unrolled: 1-line block ×3, first 2 shown]
                                        ; implicit-def: $vgpr3
                                        ; implicit-def: $vgpr4
                                        ; implicit-def: $vgpr32
                                        ; implicit-def: $vgpr7
                                        ; implicit-def: $vgpr30
                                        ; implicit-def: $vgpr5
                                        ; implicit-def: $vgpr33
                                        ; implicit-def: $vgpr15
                                        ; implicit-def: $vgpr31
                                        ; implicit-def: $vgpr6
                                        ; implicit-def: $vgpr35
                                        ; implicit-def: $vgpr18
                                        ; implicit-def: $vgpr34
                                        ; implicit-def: $vgpr14
                                        ; implicit-def: $vgpr37
                                        ; implicit-def: $vgpr19
                                        ; implicit-def: $vgpr36
                                        ; implicit-def: $vgpr17
                                        ; implicit-def: $vgpr38
                                        ; implicit-def: $vgpr20
                                        ; implicit-def: $vgpr28
                                        ; implicit-def: $vgpr21
	s_xor_b32 exec_lo, exec_lo, s1
	s_cbranch_execz .LBB0_15
; %bb.12:
	s_add_u32 s4, s16, s4
	s_addc_u32 s5, s17, s5
	v_lshlrev_b64 v[1:2], 2, v[1:2]
	s_load_dwordx2 s[4:5], s[4:5], 0x0
	v_mov_b32_e32 v13, 0
	v_mov_b32_e32 v29, 0
                                        ; implicit-def: $vgpr21
                                        ; implicit-def: $vgpr28
	s_waitcnt lgkmcnt(0)
	v_mul_lo_u32 v5, s5, v11
	v_mul_lo_u32 v6, s4, v12
	v_mad_u64_u32 v[3:4], null, s4, v11, 0
	s_mov_b32 s4, exec_lo
	v_add3_u32 v4, v4, v6, v5
	v_mul_u32_u24_e32 v5, 0x6e, v22
	v_lshlrev_b64 v[3:4], 2, v[3:4]
	v_sub_nc_u32_e32 v16, v0, v5
	v_add_co_u32 v0, s0, s8, v3
	v_add_co_ci_u32_e64 v3, s0, s9, v4, s0
	v_lshlrev_b32_e32 v4, 2, v16
	v_add_co_u32 v0, s0, v0, v1
	v_add_co_ci_u32_e64 v1, s0, v3, v2, s0
	v_add_co_u32 v19, s0, v0, v4
	v_add_co_ci_u32_e64 v20, s0, 0, v1, s0
	s_clause 0x3
	global_load_dword v4, v[19:20], off
	global_load_dword v5, v[19:20], off offset:440
	global_load_dword v6, v[19:20], off offset:880
	;; [unrolled: 1-line block ×3, first 2 shown]
	v_add_co_u32 v0, s0, 0x800, v19
	v_add_co_ci_u32_e64 v1, s0, 0, v20, s0
	v_add_co_u32 v2, s0, 0x1000, v19
	v_add_co_ci_u32_e64 v3, s0, 0, v20, s0
	s_clause 0x5
	global_load_dword v15, v[0:1], off offset:812
	global_load_dword v18, v[0:1], off offset:1252
	;; [unrolled: 1-line block ×6, first 2 shown]
	v_cmpx_gt_u32_e32 55, v16
	s_cbranch_execz .LBB0_14
; %bb.13:
	s_clause 0x1
	global_load_dword v13, v[0:1], off offset:152
	global_load_dword v21, v[2:3], off offset:524
	s_waitcnt vmcnt(1)
	v_lshrrev_b32_e32 v29, 16, v13
	s_waitcnt vmcnt(0)
	v_lshrrev_b32_e32 v28, 16, v21
.LBB0_14:
	s_or_b32 exec_lo, exec_lo, s4
	s_waitcnt vmcnt(9)
	v_lshrrev_b32_e32 v3, 16, v4
	s_waitcnt vmcnt(3)
	v_lshrrev_b32_e32 v32, 16, v7
	v_lshrrev_b32_e32 v30, 16, v5
	;; [unrolled: 1-line block ×6, first 2 shown]
	s_waitcnt vmcnt(1)
	v_lshrrev_b32_e32 v37, 16, v19
	v_lshrrev_b32_e32 v36, 16, v17
	s_waitcnt vmcnt(0)
	v_lshrrev_b32_e32 v38, 16, v20
	v_mov_b32_e32 v10, v16
.LBB0_15:
	s_or_b32 exec_lo, exec_lo, s1
	v_sub_f16_e32 v15, v5, v15
	v_sub_f16_e32 v2, v4, v7
	;; [unrolled: 1-line block ×5, first 2 shown]
	v_fma_f16 v5, v5, 2.0, -v15
	v_sub_f16_e32 v20, v17, v20
	v_fma_f16 v22, v4, 2.0, -v2
	v_fma_f16 v21, v14, 2.0, -v19
	;; [unrolled: 1-line block ×3, first 2 shown]
	v_add_nc_u32_e32 v14, 0x6e, v16
	v_add_nc_u32_e32 v13, 0xdc, v16
	v_pack_b32_f16 v5, v5, v15
	v_add_nc_u32_e32 v15, 0x226, v16
	v_fma_f16 v6, v6, 2.0, -v18
	v_fma_f16 v17, v17, 2.0, -v20
	v_lshl_add_u32 v1, v16, 2, 0
	v_lshlrev_b32_e32 v0, 1, v16
	v_pack_b32_f16 v22, v22, v2
	v_lshl_add_u32 v2, v14, 2, 0
	v_lshl_add_u32 v39, v13, 2, 0
	v_cmp_gt_u32_e64 s1, 55, v16
	v_lshl_add_u32 v40, v15, 2, 0
	v_pack_b32_f16 v6, v6, v18
	v_pack_b32_f16 v18, v21, v19
	;; [unrolled: 1-line block ×3, first 2 shown]
	v_add_nc_u32_e32 v19, 0x400, v1
	ds_write_b32 v1, v22
	ds_write_b32 v2, v5
	ds_write_b32 v39, v6
	ds_write2_b32 v19, v18, v17 offset0:74 offset1:184
	s_and_saveexec_b32 s0, s1
	s_cbranch_execz .LBB0_17
; %bb.16:
	v_perm_b32 v5, v7, v4, 0x5040100
	ds_write_b32 v40, v5
.LBB0_17:
	s_or_b32 exec_lo, exec_lo, s0
	v_sub_nc_u32_e32 v15, v1, v0
	s_waitcnt lgkmcnt(0)
	s_barrier
	buffer_gl0_inv
	v_sub_nc_u32_e32 v0, 0, v0
	ds_read_u16 v5, v15
	ds_read_u16 v17, v15 offset:1672
	ds_read_u16 v21, v15 offset:1452
	;; [unrolled: 1-line block ×9, first 2 shown]
	v_add_nc_u32_e32 v41, 0x528, v1
	v_add_nc_u32_e32 v42, 0x6e0, v1
	v_cmp_gt_u32_e64 s0, 22, v16
	v_add_nc_u32_e32 v15, v1, v0
                                        ; implicit-def: $vgpr22
                                        ; implicit-def: $vgpr25
                                        ; implicit-def: $vgpr26
	s_and_saveexec_b32 s4, s0
	s_cbranch_execz .LBB0_19
; %bb.18:
	ds_read_u16 v4, v15 offset:440
	ds_read_u16 v7, v15 offset:924
	;; [unrolled: 1-line block ×5, first 2 shown]
.LBB0_19:
	s_or_b32 exec_lo, exec_lo, s4
	v_sub_f16_e32 v32, v3, v32
	v_sub_f16_e32 v33, v30, v33
	;; [unrolled: 1-line block ×5, first 2 shown]
	v_fma_f16 v3, v3, 2.0, -v32
	v_sub_f16_e32 v28, v29, v28
	v_fma_f16 v30, v30, 2.0, -v33
	v_fma_f16 v31, v31, 2.0, -v35
	;; [unrolled: 1-line block ×5, first 2 shown]
	v_pack_b32_f16 v3, v3, v32
	v_pack_b32_f16 v29, v30, v33
	;; [unrolled: 1-line block ×5, first 2 shown]
	s_waitcnt lgkmcnt(0)
	s_barrier
	buffer_gl0_inv
	ds_write_b32 v1, v3
	ds_write_b32 v2, v29
	;; [unrolled: 1-line block ×5, first 2 shown]
	s_and_saveexec_b32 s4, s1
	s_cbranch_execz .LBB0_21
; %bb.20:
	v_perm_b32 v1, v28, v0, 0x5040100
	ds_write_b32 v40, v1
.LBB0_21:
	s_or_b32 exec_lo, exec_lo, s4
	s_waitcnt lgkmcnt(0)
	s_barrier
	buffer_gl0_inv
	ds_read_u16 v2, v15
	ds_read_u16 v34, v15 offset:1672
	ds_read_u16 v44, v15 offset:1452
	;; [unrolled: 1-line block ×9, first 2 shown]
                                        ; implicit-def: $vgpr41
                                        ; implicit-def: $vgpr42
                                        ; implicit-def: $vgpr45
	s_and_saveexec_b32 s1, s0
	s_cbranch_execz .LBB0_23
; %bb.22:
	ds_read_u16 v0, v15 offset:440
	ds_read_u16 v28, v15 offset:924
	;; [unrolled: 1-line block ×5, first 2 shown]
.LBB0_23:
	s_or_b32 exec_lo, exec_lo, s1
	v_and_b32_e32 v1, 1, v16
	v_lshrrev_b32_e32 v14, 1, v14
	v_lshrrev_b32_e32 v13, 1, v13
	v_lshlrev_b32_e32 v29, 4, v1
	v_mul_u32_u24_e32 v14, 10, v14
	global_load_dwordx4 v[53:56], v29, s[12:13]
	v_lshrrev_b32_e32 v29, 1, v16
	v_or_b32_e32 v14, v14, v1
	s_waitcnt vmcnt(0) lgkmcnt(0)
	s_barrier
	buffer_gl0_inv
	v_mul_u32_u24_e32 v29, 10, v29
	v_lshl_add_u32 v32, v14, 1, 0
	v_or_b32_e32 v29, v29, v1
	v_lshl_add_u32 v33, v29, 1, 0
	v_mul_f16_sdwa v58, v46, v54 dst_sel:DWORD dst_unused:UNUSED_PAD src0_sel:DWORD src1_sel:WORD_1
	v_mul_f16_sdwa v59, v44, v55 dst_sel:DWORD dst_unused:UNUSED_PAD src0_sel:DWORD src1_sel:WORD_1
	v_mul_f16_sdwa v57, v48, v53 dst_sel:DWORD dst_unused:UNUSED_PAD src0_sel:DWORD src1_sel:WORD_1
	v_mul_f16_sdwa v60, v47, v56 dst_sel:DWORD dst_unused:UNUSED_PAD src0_sel:DWORD src1_sel:WORD_1
	v_mul_f16_sdwa v61, v43, v53 dst_sel:DWORD dst_unused:UNUSED_PAD src0_sel:DWORD src1_sel:WORD_1
	v_mul_f16_sdwa v62, v35, v54 dst_sel:DWORD dst_unused:UNUSED_PAD src0_sel:DWORD src1_sel:WORD_1
	v_mul_f16_sdwa v63, v34, v55 dst_sel:DWORD dst_unused:UNUSED_PAD src0_sel:DWORD src1_sel:WORD_1
	v_mul_f16_sdwa v64, v37, v56 dst_sel:DWORD dst_unused:UNUSED_PAD src0_sel:DWORD src1_sel:WORD_1
	v_mul_f16_sdwa v51, v27, v53 dst_sel:DWORD dst_unused:UNUSED_PAD src0_sel:DWORD src1_sel:WORD_1
	v_mul_f16_sdwa v52, v23, v54 dst_sel:DWORD dst_unused:UNUSED_PAD src0_sel:DWORD src1_sel:WORD_1
	v_mul_f16_sdwa v49, v21, v55 dst_sel:DWORD dst_unused:UNUSED_PAD src0_sel:DWORD src1_sel:WORD_1
	v_mul_f16_sdwa v50, v24, v56 dst_sel:DWORD dst_unused:UNUSED_PAD src0_sel:DWORD src1_sel:WORD_1
	v_mul_f16_sdwa v39, v18, v54 dst_sel:DWORD dst_unused:UNUSED_PAD src0_sel:DWORD src1_sel:WORD_1
	v_mul_f16_sdwa v67, v42, v55 dst_sel:DWORD dst_unused:UNUSED_PAD src0_sel:DWORD src1_sel:WORD_1
	v_fma_f16 v23, v23, v54, -v58
	v_fma_f16 v21, v21, v55, -v59
	v_mul_f16_sdwa v38, v20, v53 dst_sel:DWORD dst_unused:UNUSED_PAD src0_sel:DWORD src1_sel:WORD_1
	v_fma_f16 v27, v27, v53, -v57
	v_fma_f16 v24, v24, v56, -v60
	v_mul_f16_sdwa v40, v17, v55 dst_sel:DWORD dst_unused:UNUSED_PAD src0_sel:DWORD src1_sel:WORD_1
	v_mul_f16_sdwa v36, v19, v56 dst_sel:DWORD dst_unused:UNUSED_PAD src0_sel:DWORD src1_sel:WORD_1
	;; [unrolled: 1-line block ×6, first 2 shown]
	v_fma_f16 v20, v20, v53, -v61
	v_fma_f16 v18, v18, v54, -v62
	;; [unrolled: 1-line block ×4, first 2 shown]
	v_mul_f16_sdwa v66, v45, v54 dst_sel:DWORD dst_unused:UNUSED_PAD src0_sel:DWORD src1_sel:WORD_1
	v_fmac_f16_e32 v51, v48, v53
	v_fmac_f16_e32 v50, v47, v56
	v_fmac_f16_e32 v39, v35, v54
	v_fma_f16 v35, v25, v55, -v67
	v_add_f16_e32 v25, v23, v21
	v_mul_f16_sdwa v14, v7, v53 dst_sel:DWORD dst_unused:UNUSED_PAD src0_sel:DWORD src1_sel:WORD_1
	v_fmac_f16_e32 v52, v46, v54
	v_fmac_f16_e32 v49, v44, v55
	;; [unrolled: 1-line block ×3, first 2 shown]
	v_add_f16_e32 v43, v27, v24
	v_mul_f16_sdwa v65, v28, v53 dst_sel:DWORD dst_unused:UNUSED_PAD src0_sel:DWORD src1_sel:WORD_1
	v_fmac_f16_e32 v40, v34, v55
	v_fmac_f16_e32 v36, v37, v56
	;; [unrolled: 1-line block ×4, first 2 shown]
	v_fma_f16 v37, v22, v56, -v68
	v_fmac_f16_e32 v31, v41, v56
	v_add_f16_e32 v22, v5, v27
	v_sub_f16_e32 v41, v27, v23
	v_sub_f16_e32 v42, v24, v21
	;; [unrolled: 1-line block ×4, first 2 shown]
	v_add_f16_e32 v47, v18, v17
	v_add_f16_e32 v56, v20, v19
	v_fma_f16 v34, v26, v54, -v66
	v_sub_f16_e32 v26, v51, v50
	v_fma_f16 v25, -0.5, v25, v5
	v_fmac_f16_e32 v14, v28, v53
	v_sub_f16_e32 v28, v52, v49
	v_sub_f16_e32 v54, v20, v18
	;; [unrolled: 1-line block ×3, first 2 shown]
	v_fmac_f16_e32 v5, -0.5, v43
	v_fma_f16 v7, v7, v53, -v65
	v_add_f16_e32 v46, v6, v20
	v_sub_f16_e32 v48, v38, v36
	v_sub_f16_e32 v53, v39, v40
	v_add_f16_e32 v22, v22, v23
	v_add_f16_e32 v41, v41, v42
	;; [unrolled: 1-line block ×3, first 2 shown]
	v_fma_f16 v44, -0.5, v47, v6
	v_fmac_f16_e32 v6, -0.5, v56
	v_fmamk_f16 v47, v26, 0x3b9c, v25
	v_add_f16_e32 v45, v54, v55
	v_fmamk_f16 v54, v28, 0xbb9c, v5
	v_fmac_f16_e32 v5, 0x3b9c, v28
	v_fmac_f16_e32 v25, 0xbb9c, v26
	v_sub_f16_e32 v57, v18, v20
	v_sub_f16_e32 v58, v17, v19
	v_add_f16_e32 v43, v46, v18
	v_add_f16_e32 v22, v22, v21
	v_fmamk_f16 v55, v48, 0x3b9c, v44
	v_fmac_f16_e32 v44, 0xbb9c, v48
	v_fmamk_f16 v56, v53, 0xbb9c, v6
	v_fmac_f16_e32 v6, 0x3b9c, v53
	v_fmac_f16_e32 v47, 0x38b4, v28
	;; [unrolled: 1-line block ×5, first 2 shown]
	v_add_f16_e32 v46, v57, v58
	v_add_f16_e32 v43, v43, v17
	;; [unrolled: 1-line block ×3, first 2 shown]
	v_fmac_f16_e32 v55, 0x38b4, v53
	v_fmac_f16_e32 v44, 0xb8b4, v53
	;; [unrolled: 1-line block ×8, first 2 shown]
	v_add_f16_e32 v26, v43, v19
	v_fmac_f16_e32 v55, 0x34f2, v45
	v_fmac_f16_e32 v44, 0x34f2, v45
	;; [unrolled: 1-line block ×4, first 2 shown]
	ds_write_b16 v33, v22
	ds_write_b16 v33, v47 offset:4
	ds_write_b16 v33, v54 offset:8
	;; [unrolled: 1-line block ×4, first 2 shown]
	ds_write_b16 v32, v26
	ds_write_b16 v32, v55 offset:4
	ds_write_b16 v32, v56 offset:8
	ds_write_b16 v32, v6 offset:12
	ds_write_b16 v32, v44 offset:16
	s_and_saveexec_b32 s1, s0
	s_cbranch_execz .LBB0_25
; %bb.24:
	v_add_f16_e32 v5, v7, v37
	v_add_f16_e32 v26, v34, v35
	v_sub_f16_e32 v6, v34, v7
	v_sub_f16_e32 v22, v35, v37
	v_add_f16_e32 v42, v4, v7
	v_fma_f16 v5, -0.5, v5, v4
	v_sub_f16_e32 v28, v14, v31
	v_fma_f16 v4, -0.5, v26, v4
	v_sub_f16_e32 v25, v29, v30
	v_sub_f16_e32 v41, v7, v34
	;; [unrolled: 1-line block ×3, first 2 shown]
	v_add_f16_e32 v6, v6, v22
	v_add_f16_e32 v22, v42, v34
	v_mul_u32_u24_e32 v44, 10, v13
	v_fmamk_f16 v42, v28, 0xbb9c, v4
	v_fmac_f16_e32 v4, 0x3b9c, v28
	v_fmamk_f16 v26, v25, 0x3b9c, v5
	v_fmac_f16_e32 v5, 0xbb9c, v25
	v_add_f16_e32 v41, v41, v43
	v_add_f16_e32 v22, v22, v35
	v_or_b32_e32 v43, v44, v1
	v_fmac_f16_e32 v4, 0x38b4, v25
	v_fmac_f16_e32 v5, 0x38b4, v28
	;; [unrolled: 1-line block ×4, first 2 shown]
	v_add_f16_e32 v22, v22, v37
	v_lshl_add_u32 v25, v43, 1, 0
	v_fmac_f16_e32 v4, 0x34f2, v41
	v_fmac_f16_e32 v5, 0x34f2, v6
	;; [unrolled: 1-line block ×4, first 2 shown]
	ds_write_b16 v25, v22
	ds_write_b16 v25, v4 offset:4
	ds_write_b16 v25, v5 offset:8
	;; [unrolled: 1-line block ×4, first 2 shown]
.LBB0_25:
	s_or_b32 exec_lo, exec_lo, s1
	v_add_f16_e32 v4, v52, v49
	v_sub_f16_e32 v6, v27, v24
	v_sub_f16_e32 v21, v23, v21
	v_add_f16_e32 v23, v51, v50
	v_add_f16_e32 v5, v2, v51
	v_fma_f16 v4, -0.5, v4, v2
	v_sub_f16_e32 v22, v51, v52
	v_sub_f16_e32 v24, v50, v49
	v_fmac_f16_e32 v2, -0.5, v23
	v_sub_f16_e32 v25, v52, v51
	v_fmamk_f16 v41, v6, 0xbb9c, v4
	v_fmac_f16_e32 v4, 0x3b9c, v6
	v_add_f16_e32 v22, v22, v24
	v_fmamk_f16 v42, v21, 0x3b9c, v2
	v_fmac_f16_e32 v2, 0xbb9c, v21
	v_fmac_f16_e32 v41, 0xb8b4, v21
	v_fmac_f16_e32 v4, 0x38b4, v21
	v_add_f16_e32 v21, v3, v38
	v_add_f16_e32 v24, v39, v40
	v_sub_f16_e32 v23, v49, v50
	v_fmac_f16_e32 v42, 0xb8b4, v6
	v_fmac_f16_e32 v2, 0x38b4, v6
	v_add_f16_e32 v6, v21, v39
	v_fma_f16 v43, -0.5, v24, v3
	v_add_f16_e32 v21, v38, v36
	v_sub_f16_e32 v44, v20, v19
	v_sub_f16_e32 v18, v18, v17
	;; [unrolled: 1-line block ×4, first 2 shown]
	v_add_f16_e32 v23, v25, v23
	v_fmac_f16_e32 v3, -0.5, v21
	v_fmamk_f16 v45, v44, 0xbb9c, v43
	v_fmac_f16_e32 v43, 0x3b9c, v44
	v_sub_f16_e32 v20, v39, v38
	v_sub_f16_e32 v21, v40, v36
	v_add_f16_e32 v38, v17, v19
	v_lshl_add_u32 v17, v16, 1, 0
	v_fmac_f16_e32 v41, 0x34f2, v22
	v_fmac_f16_e32 v4, 0x34f2, v22
	;; [unrolled: 1-line block ×4, first 2 shown]
	v_fmamk_f16 v46, v18, 0x3b9c, v3
	v_fmac_f16_e32 v45, 0xb8b4, v18
	v_fmac_f16_e32 v43, 0x38b4, v18
	v_add_f16_e32 v39, v20, v21
	v_fmac_f16_e32 v3, 0xbb9c, v18
	s_waitcnt lgkmcnt(0)
	s_barrier
	buffer_gl0_inv
	ds_read_u16 v26, v17 offset:440
	ds_read_u16 v25, v17 offset:660
	;; [unrolled: 1-line block ×6, first 2 shown]
	ds_read_u16 v18, v15
	ds_read_u16 v27, v17 offset:1100
	ds_read_u16 v23, v15 offset:1760
	;; [unrolled: 1-line block ×4, first 2 shown]
	v_add_f16_e32 v5, v5, v52
	v_add_f16_e32 v6, v6, v40
	v_fmac_f16_e32 v46, 0xb8b4, v44
	v_fmac_f16_e32 v3, 0x38b4, v44
	;; [unrolled: 1-line block ×3, first 2 shown]
	v_add_f16_e32 v5, v5, v49
	v_add_f16_e32 v6, v6, v36
	v_fmac_f16_e32 v43, 0x34f2, v38
	v_fmac_f16_e32 v46, 0x34f2, v39
	;; [unrolled: 1-line block ×3, first 2 shown]
	v_add_f16_e32 v5, v5, v50
	s_waitcnt lgkmcnt(0)
	s_barrier
	buffer_gl0_inv
	ds_write_b16 v33, v5
	ds_write_b16 v33, v41 offset:4
	ds_write_b16 v33, v42 offset:8
	;; [unrolled: 1-line block ×4, first 2 shown]
	ds_write_b16 v32, v6
	ds_write_b16 v32, v45 offset:4
	ds_write_b16 v32, v46 offset:8
	;; [unrolled: 1-line block ×4, first 2 shown]
	s_and_saveexec_b32 s1, s0
	s_cbranch_execz .LBB0_27
; %bb.26:
	v_add_f16_e32 v3, v29, v30
	v_add_f16_e32 v6, v14, v31
	v_add_f16_e32 v2, v0, v14
	v_sub_f16_e32 v4, v7, v37
	v_sub_f16_e32 v5, v34, v35
	v_fma_f16 v3, -0.5, v3, v0
	v_sub_f16_e32 v7, v14, v29
	v_sub_f16_e32 v32, v31, v30
	v_fmac_f16_e32 v0, -0.5, v6
	v_add_f16_e32 v2, v2, v29
	v_mul_u32_u24_e32 v13, 10, v13
	v_fmamk_f16 v6, v4, 0xbb9c, v3
	v_add_f16_e32 v7, v7, v32
	v_fmamk_f16 v32, v5, 0x3b9c, v0
	v_sub_f16_e32 v14, v29, v14
	v_sub_f16_e32 v29, v30, v31
	v_fmac_f16_e32 v0, 0xbb9c, v5
	v_fmac_f16_e32 v3, 0x3b9c, v4
	v_add_f16_e32 v2, v2, v30
	v_or_b32_e32 v1, v13, v1
	v_fmac_f16_e32 v6, 0xb8b4, v5
	v_fmac_f16_e32 v32, 0xb8b4, v4
	v_add_f16_e32 v13, v14, v29
	v_fmac_f16_e32 v0, 0x38b4, v4
	v_fmac_f16_e32 v3, 0x38b4, v5
	v_add_f16_e32 v2, v2, v31
	v_lshl_add_u32 v1, v1, 1, 0
	v_fmac_f16_e32 v6, 0x34f2, v7
	v_fmac_f16_e32 v32, 0x34f2, v13
	;; [unrolled: 1-line block ×4, first 2 shown]
	ds_write_b16 v1, v2
	ds_write_b16 v1, v6 offset:4
	ds_write_b16 v1, v32 offset:8
	;; [unrolled: 1-line block ×4, first 2 shown]
.LBB0_27:
	s_or_b32 exec_lo, exec_lo, s1
	v_and_b32_e32 v0, 0xff, v16
	v_mov_b32_e32 v1, 10
	s_waitcnt lgkmcnt(0)
	s_barrier
	buffer_gl0_inv
	v_mul_lo_u16 v0, 0xcd, v0
	v_mov_b32_e32 v32, 0xdc
	v_mov_b32_e32 v34, 1
	v_lshrrev_b16 v30, 11, v0
	v_mul_lo_u16 v0, v30, 10
	v_mul_u32_u24_sdwa v30, v30, v32 dst_sel:DWORD dst_unused:UNUSED_PAD src0_sel:WORD_0 src1_sel:DWORD
	v_sub_nc_u16 v31, v16, v0
	v_mul_u32_u24_sdwa v0, v31, v1 dst_sel:DWORD dst_unused:UNUSED_PAD src0_sel:BYTE_0 src1_sel:DWORD
	v_lshlrev_b32_sdwa v32, v34, v31 dst_sel:DWORD dst_unused:UNUSED_PAD src0_sel:DWORD src1_sel:BYTE_0
	v_lshlrev_b32_e32 v13, 2, v0
	v_add3_u32 v30, 0, v30, v32
	s_clause 0x2
	global_load_dwordx4 v[0:3], v13, s[12:13] offset:32
	global_load_dwordx4 v[4:7], v13, s[12:13] offset:48
	global_load_dwordx2 v[13:14], v13, s[12:13] offset:64
	ds_read_u16 v29, v15 offset:220
	ds_read_u16 v33, v17 offset:440
	;; [unrolled: 1-line block ×10, first 2 shown]
	ds_read_u16 v31, v15
	s_waitcnt vmcnt(0) lgkmcnt(0)
	s_barrier
	buffer_gl0_inv
	v_mul_f16_sdwa v32, v29, v0 dst_sel:DWORD dst_unused:UNUSED_PAD src0_sel:DWORD src1_sel:WORD_1
	v_mul_f16_sdwa v42, v28, v0 dst_sel:DWORD dst_unused:UNUSED_PAD src0_sel:DWORD src1_sel:WORD_1
	;; [unrolled: 1-line block ×18, first 2 shown]
	v_fma_f16 v28, v28, v0, -v32
	v_mul_f16_sdwa v59, v41, v14 dst_sel:DWORD dst_unused:UNUSED_PAD src0_sel:DWORD src1_sel:WORD_1
	v_mul_f16_sdwa v60, v21, v14 dst_sel:DWORD dst_unused:UNUSED_PAD src0_sel:DWORD src1_sel:WORD_1
	v_fmac_f16_e32 v42, v29, v0
	v_fma_f16 v0, v26, v1, -v43
	v_fmac_f16_e32 v44, v33, v1
	v_fma_f16 v1, v25, v2, -v45
	;; [unrolled: 2-line block ×8, first 2 shown]
	v_fmac_f16_e32 v58, v40, v13
	v_add_f16_e32 v13, v18, v28
	v_fma_f16 v19, v21, v14, -v59
	v_fmac_f16_e32 v60, v41, v14
	v_add_f16_e32 v14, v31, v42
	v_add_f16_e32 v24, v0, v7
	v_sub_f16_e32 v26, v0, v7
	v_add_f16_e32 v0, v13, v0
	v_sub_f16_e32 v22, v28, v19
	v_sub_f16_e32 v23, v42, v60
	v_add_f16_e32 v13, v14, v44
	v_add_f16_e32 v20, v28, v19
	;; [unrolled: 1-line block ×5, first 2 shown]
	v_sub_f16_e32 v27, v44, v58
	v_add_f16_e32 v28, v1, v6
	v_sub_f16_e32 v32, v1, v6
	v_sub_f16_e32 v33, v46, v56
	;; [unrolled: 1-line block ×6, first 2 shown]
	v_mul_f16_e32 v14, 0xb853, v23
	v_mul_f16_e32 v42, 0xb853, v22
	;; [unrolled: 1-line block ×8, first 2 shown]
	v_add_f16_e32 v1, v13, v46
	v_add_f16_e32 v0, v0, v2
	;; [unrolled: 1-line block ×7, first 2 shown]
	v_mul_f16_e32 v51, 0xba0c, v22
	v_mul_f16_e32 v22, 0xb482, v22
	v_mul_f16_e32 v53, 0xbb47, v27
	v_mul_f16_e32 v55, 0xbb47, v26
	v_mul_f16_e32 v57, 0xba0c, v27
	v_mul_f16_e32 v59, 0xba0c, v26
	v_mul_f16_e32 v61, 0x3482, v27
	v_mul_f16_e32 v62, 0x3482, v26
	v_mul_f16_e32 v63, 0x3beb, v27
	v_mul_f16_e32 v64, 0x3beb, v26
	v_mul_f16_e32 v27, 0x3853, v27
	v_mul_f16_e32 v26, 0x3853, v26
	v_mul_f16_e32 v65, 0xbbeb, v33
	v_mul_f16_e32 v66, 0xbbeb, v32
	v_mul_f16_e32 v67, 0x3482, v33
	v_mul_f16_e32 v68, 0x3b47, v33
	v_mul_f16_e32 v69, 0xb853, v33
	v_mul_f16_e32 v33, 0xba0c, v33
	v_mul_f16_e32 v70, 0x3482, v32
	v_mul_f16_e32 v71, 0x3b47, v32
	v_mul_f16_e32 v72, 0xb853, v32
	v_mul_f16_e32 v32, 0xba0c, v32
	v_mul_f16_e32 v73, 0xba0c, v34
	v_mul_f16_e32 v74, 0x3beb, v34
	v_mul_f16_e32 v75, 0xb853, v34
	v_mul_f16_e32 v76, 0xb482, v34
	v_mul_f16_e32 v34, 0x3b47, v34
	v_mul_f16_e32 v77, 0xba0c, v36
	v_mul_f16_e32 v78, 0x3beb, v36
	v_mul_f16_e32 v79, 0xb853, v36
	v_mul_f16_e32 v80, 0xb482, v36
	v_mul_f16_e32 v36, 0x3b47, v36
	v_mul_f16_e32 v81, 0xb482, v38
	v_mul_f16_e32 v82, 0x3853, v38
	v_mul_f16_e32 v83, 0xba0c, v38
	v_mul_f16_e32 v84, 0x3b47, v38
	v_mul_f16_e32 v38, 0xbbeb, v38
	v_mul_f16_e32 v85, 0xb482, v40
	v_mul_f16_e32 v86, 0x3853, v40
	v_mul_f16_e32 v87, 0xba0c, v40
	v_mul_f16_e32 v88, 0x3b47, v40
	v_mul_f16_e32 v40, 0xbbeb, v40
	v_fma_f16 v13, v20, 0x3abb, -v14
	v_fmamk_f16 v46, v21, 0x3abb, v42
	v_fmac_f16_e32 v14, 0x3abb, v20
	v_fma_f16 v42, v21, 0x3abb, -v42
	v_fma_f16 v89, v20, 0x36a6, -v43
	v_fmamk_f16 v90, v21, 0x36a6, v44
	v_fmac_f16_e32 v43, 0x36a6, v20
	v_fma_f16 v44, v21, 0x36a6, -v44
	;; [unrolled: 4-line block ×3, first 2 shown]
	v_fmac_f16_e32 v49, 0xb93d, v20
	v_fma_f16 v95, v20, 0xbbad, -v23
	v_fmac_f16_e32 v23, 0xbbad, v20
	v_add_f16_e32 v1, v1, v48
	v_add_f16_e32 v0, v0, v3
	v_fma_f16 v47, v21, 0xb08e, -v47
	v_fmamk_f16 v94, v21, 0xb93d, v51
	v_fma_f16 v51, v21, 0xb93d, -v51
	v_fmamk_f16 v96, v21, 0xbbad, v22
	v_fma_f16 v20, v21, 0xbbad, -v22
	v_fma_f16 v21, v24, 0x36a6, -v53
	v_fmamk_f16 v22, v25, 0x36a6, v55
	v_fmac_f16_e32 v53, 0x36a6, v24
	v_fma_f16 v55, v25, 0x36a6, -v55
	v_fma_f16 v97, v24, 0xb93d, -v57
	v_fmamk_f16 v98, v25, 0xb93d, v59
	v_fmac_f16_e32 v57, 0xb93d, v24
	v_fma_f16 v59, v25, 0xb93d, -v59
	v_fma_f16 v99, v24, 0xbbad, -v61
	v_fmamk_f16 v100, v25, 0xbbad, v62
	v_fmac_f16_e32 v61, 0xbbad, v24
	v_fma_f16 v62, v25, 0xbbad, -v62
	v_fma_f16 v101, v24, 0xb08e, -v63
	v_fmamk_f16 v102, v25, 0xb08e, v64
	v_fmac_f16_e32 v63, 0xb08e, v24
	v_fma_f16 v64, v25, 0xb08e, -v64
	v_fma_f16 v103, v24, 0x3abb, -v27
	v_fmamk_f16 v104, v25, 0x3abb, v26
	v_fmac_f16_e32 v27, 0x3abb, v24
	v_fma_f16 v24, v25, 0x3abb, -v26
	v_fma_f16 v25, v28, 0xb08e, -v65
	v_fmac_f16_e32 v65, 0xb08e, v28
	v_fma_f16 v26, v28, 0xbbad, -v67
	v_fmac_f16_e32 v67, 0xbbad, v28
	v_fma_f16 v105, v28, 0x36a6, -v68
	v_fmac_f16_e32 v68, 0x36a6, v28
	v_fma_f16 v106, v28, 0x3abb, -v69
	v_fmac_f16_e32 v69, 0x3abb, v28
	v_fma_f16 v107, v28, 0xb93d, -v33
	v_fmac_f16_e32 v33, 0xb93d, v28
	v_fmamk_f16 v28, v29, 0xb08e, v66
	v_fma_f16 v66, v29, 0xb08e, -v66
	v_fmamk_f16 v108, v29, 0xbbad, v70
	v_fma_f16 v70, v29, 0xbbad, -v70
	v_fmamk_f16 v109, v29, 0x36a6, v71
	v_fma_f16 v71, v29, 0x36a6, -v71
	v_fmamk_f16 v110, v29, 0x3abb, v72
	v_fma_f16 v72, v29, 0x3abb, -v72
	v_fmamk_f16 v111, v29, 0xb93d, v32
	v_fma_f16 v29, v29, 0xb93d, -v32
	v_fma_f16 v32, v35, 0xb93d, -v73
	v_fmac_f16_e32 v73, 0xb93d, v35
	v_fma_f16 v112, v35, 0xb08e, -v74
	v_fmac_f16_e32 v74, 0xb08e, v35
	v_fma_f16 v113, v35, 0x3abb, -v75
	v_fmac_f16_e32 v75, 0x3abb, v35
	v_fma_f16 v114, v35, 0xbbad, -v76
	v_fmac_f16_e32 v76, 0xbbad, v35
	v_fma_f16 v115, v35, 0x36a6, -v34
	v_fmac_f16_e32 v34, 0x36a6, v35
	v_fmamk_f16 v35, v37, 0xb93d, v77
	v_fma_f16 v77, v37, 0xb93d, -v77
	v_fmamk_f16 v116, v37, 0xb08e, v78
	v_fma_f16 v78, v37, 0xb08e, -v78
	v_fmamk_f16 v117, v37, 0x3abb, v79
	v_fma_f16 v79, v37, 0x3abb, -v79
	v_fmamk_f16 v118, v37, 0xbbad, v80
	v_fma_f16 v80, v37, 0xbbad, -v80
	v_fmamk_f16 v119, v37, 0x36a6, v36
	;; [unrolled: 20-line block ×3, first 2 shown]
	v_fma_f16 v40, v41, 0xb08e, -v40
	v_add_f16_e32 v2, v18, v13
	v_add_f16_e32 v13, v18, v14
	v_add_f16_e32 v14, v18, v89
	v_add_f16_e32 v41, v18, v43
	v_add_f16_e32 v43, v18, v91
	v_add_f16_e32 v45, v18, v45
	v_add_f16_e32 v48, v18, v93
	v_add_f16_e32 v49, v18, v49
	v_add_f16_e32 v89, v18, v95
	v_add_f16_e32 v18, v18, v23
	v_add_f16_e32 v23, v31, v46
	v_add_f16_e32 v42, v31, v42
	v_add_f16_e32 v46, v31, v90
	v_add_f16_e32 v44, v31, v44
	v_add_f16_e32 v90, v31, v92
	v_add_f16_e32 v1, v1, v50
	v_add_f16_e32 v0, v0, v4
	v_add_f16_e32 v47, v31, v47
	v_add_f16_e32 v91, v31, v94
	v_add_f16_e32 v51, v31, v51
	v_add_f16_e32 v92, v31, v96
	v_add_f16_e32 v20, v31, v20
	v_add_f16_e32 v2, v21, v2
	v_add_f16_e32 v3, v22, v23
	v_add_f16_e32 v13, v53, v13
	v_add_f16_e32 v21, v55, v42
	v_add_f16_e32 v14, v97, v14
	v_add_f16_e32 v22, v98, v46
	v_add_f16_e32 v23, v57, v41
	v_add_f16_e32 v31, v59, v44
	v_add_f16_e32 v41, v99, v43
	v_add_f16_e32 v42, v100, v90
	v_add_f16_e32 v43, v61, v45
	v_add_f16_e32 v1, v1, v52
	v_add_f16_e32 v0, v0, v5
	v_add_f16_e32 v44, v62, v47
	v_add_f16_e32 v45, v101, v48
	v_add_f16_e32 v47, v63, v49
	v_add_f16_e32 v49, v103, v89
	v_add_f16_e32 v18, v27, v18
	v_add_f16_e32 v20, v24, v20
	v_add_f16_e32 v2, v25, v2
	v_add_f16_e32 v3, v28, v3
	v_add_f16_e32 v4, v65, v13
	v_add_f16_e32 v13, v66, v21
	v_add_f16_e32 v14, v26, v14
	v_add_f16_e32 v21, v108, v22
	v_add_f16_e32 v22, v67, v23
	v_add_f16_e32 v23, v70, v31
	v_add_f16_e32 v24, v105, v41
	v_add_f16_e32 v25, v109, v42
	v_add_f16_e32 v26, v68, v43
	v_add_f16_e32 v1, v1, v54
	v_add_f16_e32 v0, v0, v6
	v_add_f16_e32 v27, v71, v44
	v_add_f16_e32 v28, v106, v45
	v_add_f16_e32 v43, v107, v49
	v_add_f16_e32 v18, v33, v18
	v_add_f16_e32 v41, v69, v47
	v_add_f16_e32 v2, v32, v2
	v_add_f16_e32 v3, v35, v3
	v_add_f16_e32 v4, v73, v4
	v_add_f16_e32 v5, v77, v13
	v_add_f16_e32 v13, v112, v14
	v_add_f16_e32 v14, v116, v21
	v_add_f16_e32 v21, v74, v22
	v_add_f16_e32 v22, v78, v23
	v_add_f16_e32 v23, v113, v24
	v_add_f16_e32 v24, v117, v25
	v_add_f16_e32 v25, v75, v26
	v_add_f16_e32 v1, v1, v56
	v_add_f16_e32 v0, v0, v7
	v_add_f16_e32 v20, v29, v20
	v_add_f16_e32 v26, v79, v27
	v_add_f16_e32 v27, v114, v28
	v_add_f16_e32 v32, v115, v43
	v_add_f16_e32 v18, v34, v18
	v_add_f16_e32 v29, v76, v41
	v_add_f16_e32 v2, v37, v2
	v_add_f16_e32 v34, v39, v3
	v_add_f16_e32 v3, v81, v4
	v_add_f16_e32 v4, v120, v13
	v_add_f16_e32 v13, v83, v25
	v_add_f16_e32 v1, v1, v58
	v_add_f16_e32 v0, v0, v19
	v_add_f16_e32 v35, v85, v5
	v_add_f16_e32 v5, v82, v21
	v_add_f16_e32 v6, v121, v23
	v_add_f16_e32 v20, v36, v20
	v_add_f16_e32 v36, v124, v14
	v_add_f16_e32 v14, v122, v27
	v_add_f16_e32 v27, v123, v32
	v_add_f16_e32 v18, v38, v18
	v_add_f16_e32 v25, v84, v29
	ds_write_b16 v30, v2 offset:20
	ds_write_b16 v30, v4 offset:40
	;; [unrolled: 1-line block ×10, first 2 shown]
	v_add_f16_e32 v19, v1, v60
	ds_write_b16 v30, v0
	s_waitcnt lgkmcnt(0)
	s_barrier
	buffer_gl0_inv
	ds_read_u16 v6, v17 offset:440
	ds_read_u16 v3, v17 offset:660
	;; [unrolled: 1-line block ×6, first 2 shown]
	ds_read_u16 v0, v15
	ds_read_u16 v4, v17 offset:1100
	ds_read_u16 v7, v15 offset:1760
	ds_read_u16 v13, v15 offset:1980
	ds_read_u16 v18, v15 offset:2200
	v_add_f16_e32 v46, v102, v91
	v_add_f16_e32 v48, v64, v51
	;; [unrolled: 1-line block ×13, first 2 shown]
	s_waitcnt lgkmcnt(0)
	s_barrier
	v_add_f16_e32 v24, v126, v28
	v_add_f16_e32 v26, v88, v31
	;; [unrolled: 1-line block ×3, first 2 shown]
	buffer_gl0_inv
	ds_write_b16 v30, v19
	ds_write_b16 v30, v34 offset:20
	ds_write_b16 v30, v36 offset:40
	;; [unrolled: 1-line block ×10, first 2 shown]
	s_waitcnt lgkmcnt(0)
	s_barrier
	buffer_gl0_inv
	s_and_saveexec_b32 s0, vcc_lo
	s_cbranch_execz .LBB0_29
; %bb.28:
	v_mul_u32_u24_e32 v16, 10, v16
	v_mul_lo_u32 v29, s2, v12
	v_lshlrev_b64 v[8:9], 2, v[8:9]
	v_lshlrev_b32_e32 v16, 2, v16
	s_clause 0x2
	global_load_dwordx2 v[27:28], v16, s[12:13] offset:464
	global_load_dwordx4 v[19:22], v16, s[12:13] offset:432
	global_load_dwordx4 v[23:26], v16, s[12:13] offset:448
	v_mul_lo_u32 v16, s3, v11
	v_mad_u64_u32 v[11:12], null, s2, v11, 0
	ds_read_u16 v31, v15 offset:2200
	ds_read_u16 v32, v15 offset:1980
	;; [unrolled: 1-line block ×5, first 2 shown]
	v_add3_u32 v12, v12, v29, v16
	v_lshlrev_b64 v[29:30], 2, v[11:12]
	ds_read_u16 v12, v15 offset:220
	ds_read_u16 v36, v15
	v_mov_b32_e32 v11, 0
	v_add_co_u32 v15, vcc_lo, s10, v29
	ds_read_u16 v29, v17 offset:440
	v_add_co_ci_u32_e32 v16, vcc_lo, s11, v30, vcc_lo
	ds_read_u16 v30, v17 offset:660
	ds_read_u16 v37, v17 offset:880
	;; [unrolled: 1-line block ×3, first 2 shown]
	v_lshlrev_b64 v[10:11], 2, v[10:11]
	v_add_co_u32 v8, vcc_lo, v15, v8
	v_add_co_ci_u32_e32 v9, vcc_lo, v16, v9, vcc_lo
	v_add_co_u32 v8, vcc_lo, v8, v10
	v_add_co_ci_u32_e32 v9, vcc_lo, v9, v11, vcc_lo
	v_add_co_u32 v10, vcc_lo, 0x800, v8
	v_add_co_ci_u32_e32 v11, vcc_lo, 0, v9, vcc_lo
	v_add_co_u32 v15, vcc_lo, 0x1000, v8
	v_add_co_ci_u32_e32 v16, vcc_lo, 0, v9, vcc_lo
	s_waitcnt vmcnt(2)
	v_mul_f16_sdwa v38, v18, v28 dst_sel:DWORD dst_unused:UNUSED_PAD src0_sel:DWORD src1_sel:WORD_1
	s_waitcnt vmcnt(1)
	v_mul_f16_sdwa v39, v14, v19 dst_sel:DWORD dst_unused:UNUSED_PAD src0_sel:DWORD src1_sel:WORD_1
	s_waitcnt lgkmcnt(5)
	v_mul_f16_sdwa v40, v12, v19 dst_sel:DWORD dst_unused:UNUSED_PAD src0_sel:DWORD src1_sel:WORD_1
	v_mul_f16_sdwa v41, v31, v28 dst_sel:DWORD dst_unused:UNUSED_PAD src0_sel:DWORD src1_sel:WORD_1
	;; [unrolled: 1-line block ×4, first 2 shown]
	s_waitcnt lgkmcnt(3)
	v_mul_f16_sdwa v44, v29, v20 dst_sel:DWORD dst_unused:UNUSED_PAD src0_sel:DWORD src1_sel:WORD_1
	v_mul_f16_sdwa v45, v32, v27 dst_sel:DWORD dst_unused:UNUSED_PAD src0_sel:DWORD src1_sel:WORD_1
	s_waitcnt vmcnt(0)
	v_mul_f16_sdwa v55, v4, v23 dst_sel:DWORD dst_unused:UNUSED_PAD src0_sel:DWORD src1_sel:WORD_1
	v_fmac_f16_e32 v38, v31, v28
	v_fmac_f16_e32 v39, v12, v19
	v_fma_f16 v12, v14, v19, -v40
	v_fma_f16 v14, v18, v28, -v41
	v_mul_f16_sdwa v46, v7, v26 dst_sel:DWORD dst_unused:UNUSED_PAD src0_sel:DWORD src1_sel:WORD_1
	v_mul_f16_sdwa v47, v3, v21 dst_sel:DWORD dst_unused:UNUSED_PAD src0_sel:DWORD src1_sel:WORD_1
	s_waitcnt lgkmcnt(2)
	v_mul_f16_sdwa v48, v30, v21 dst_sel:DWORD dst_unused:UNUSED_PAD src0_sel:DWORD src1_sel:WORD_1
	v_mul_f16_sdwa v49, v33, v26 dst_sel:DWORD dst_unused:UNUSED_PAD src0_sel:DWORD src1_sel:WORD_1
	v_mul_f16_sdwa v50, v5, v25 dst_sel:DWORD dst_unused:UNUSED_PAD src0_sel:DWORD src1_sel:WORD_1
	v_mul_f16_sdwa v51, v2, v22 dst_sel:DWORD dst_unused:UNUSED_PAD src0_sel:DWORD src1_sel:WORD_1
	v_mul_f16_sdwa v54, v1, v24 dst_sel:DWORD dst_unused:UNUSED_PAD src0_sel:DWORD src1_sel:WORD_1
	s_waitcnt lgkmcnt(0)
	v_mul_f16_sdwa v56, v17, v23 dst_sel:DWORD dst_unused:UNUSED_PAD src0_sel:DWORD src1_sel:WORD_1
	v_fmac_f16_e32 v42, v32, v27
	v_fmac_f16_e32 v43, v29, v20
	v_fma_f16 v6, v6, v20, -v44
	v_fma_f16 v13, v13, v27, -v45
	v_fmac_f16_e32 v55, v17, v23
	v_add_f16_e32 v17, v38, v39
	v_sub_f16_e32 v18, v12, v14
	v_add_f16_e32 v27, v14, v12
	v_sub_f16_e32 v28, v39, v38
	v_add_f16_e32 v12, v0, v12
	v_add_f16_e32 v39, v36, v39
	v_mul_f16_sdwa v52, v37, v22 dst_sel:DWORD dst_unused:UNUSED_PAD src0_sel:DWORD src1_sel:WORD_1
	v_mul_f16_sdwa v53, v34, v25 dst_sel:DWORD dst_unused:UNUSED_PAD src0_sel:DWORD src1_sel:WORD_1
	v_mul_f16_sdwa v57, v35, v24 dst_sel:DWORD dst_unused:UNUSED_PAD src0_sel:DWORD src1_sel:WORD_1
	v_fmac_f16_e32 v46, v33, v26
	v_fmac_f16_e32 v47, v30, v21
	v_fma_f16 v3, v3, v21, -v48
	v_fma_f16 v7, v7, v26, -v49
	v_fmac_f16_e32 v50, v34, v25
	v_fmac_f16_e32 v51, v37, v22
	;; [unrolled: 1-line block ×3, first 2 shown]
	v_sub_f16_e32 v20, v6, v13
	v_add_f16_e32 v29, v13, v6
	v_add_f16_e32 v6, v12, v6
	;; [unrolled: 1-line block ×3, first 2 shown]
	v_fma_f16 v2, v2, v22, -v52
	v_fma_f16 v5, v5, v25, -v53
	;; [unrolled: 1-line block ×4, first 2 shown]
	v_add_f16_e32 v19, v42, v43
	v_add_f16_e32 v21, v46, v47
	v_sub_f16_e32 v22, v3, v7
	v_add_f16_e32 v23, v50, v51
	v_add_f16_e32 v25, v54, v55
	v_sub_f16_e32 v30, v43, v42
	v_add_f16_e32 v31, v7, v3
	v_sub_f16_e32 v32, v47, v46
	v_sub_f16_e32 v34, v51, v50
	;; [unrolled: 1-line block ×3, first 2 shown]
	v_mul_f16_e32 v40, 0x3abb, v17
	v_mul_f16_e32 v49, 0xb853, v28
	;; [unrolled: 1-line block ×10, first 2 shown]
	v_add_f16_e32 v3, v6, v3
	v_add_f16_e32 v6, v12, v47
	v_sub_f16_e32 v24, v2, v5
	v_sub_f16_e32 v26, v4, v1
	v_add_f16_e32 v33, v5, v2
	v_add_f16_e32 v35, v1, v4
	v_mul_f16_e32 v41, 0x36a6, v19
	v_mul_f16_e32 v44, 0xb08e, v21
	v_mul_f16_e32 v45, 0xb93d, v23
	v_mul_f16_e32 v48, 0xbbad, v25
	v_mul_f16_e32 v52, 0xbb47, v30
	v_mul_f16_e32 v53, 0xbbeb, v32
	v_mul_f16_e32 v56, 0xba0c, v34
	v_mul_f16_e32 v57, 0xb482, v37
	v_mul_f16_e32 v59, 0xb93d, v19
	v_mul_f16_e32 v60, 0xbbad, v21
	v_mul_f16_e32 v61, 0xb08e, v23
	v_mul_f16_e32 v62, 0x3abb, v25
	v_mul_f16_e32 v64, 0xba0c, v30
	v_mul_f16_e32 v65, 0x3482, v32
	v_mul_f16_e32 v66, 0x3beb, v34
	v_mul_f16_e32 v67, 0x3853, v37
	v_mul_f16_e32 v69, 0xbbad, v19
	v_mul_f16_e32 v70, 0x36a6, v21
	v_mul_f16_e32 v71, 0x3abb, v23
	v_mul_f16_e32 v72, 0xb93d, v25
	v_mul_f16_e32 v74, 0x3482, v30
	v_mul_f16_e32 v75, 0x3b47, v32
	v_mul_f16_e32 v76, 0xb853, v34
	v_mul_f16_e32 v77, 0xba0c, v37
	v_mul_f16_e32 v79, 0xb08e, v19
	v_mul_f16_e32 v80, 0x3abb, v21
	v_mul_f16_e32 v81, 0xbbad, v23
	v_mul_f16_e32 v82, 0x36a6, v25
	v_mul_f16_e32 v84, 0x3beb, v30
	v_mul_f16_e32 v85, 0xb853, v32
	v_mul_f16_e32 v86, 0xb482, v34
	v_mul_f16_e32 v87, 0x3b47, v37
	v_mul_f16_e32 v19, 0x3abb, v19
	v_mul_f16_e32 v21, 0xb93d, v21
	v_mul_f16_e32 v23, 0x36a6, v23
	v_mul_f16_e32 v25, 0xb08e, v25
	v_mul_f16_e32 v30, 0x3853, v30
	v_mul_f16_e32 v32, 0xba0c, v32
	v_mul_f16_e32 v34, 0x3b47, v34
	v_mul_f16_e32 v37, 0xbbeb, v37
	v_fmamk_f16 v39, v18, 0x3853, v40
	v_fmamk_f16 v91, v27, 0x3abb, v49
	;; [unrolled: 1-line block ×10, first 2 shown]
	v_fmac_f16_e32 v17, 0xb482, v18
	v_fma_f16 v28, v27, 0xbbad, -v28
	v_fmac_f16_e32 v78, 0xba0c, v18
	v_fma_f16 v83, v27, 0xb93d, -v83
	;; [unrolled: 2-line block ×5, first 2 shown]
	v_add_f16_e32 v2, v3, v2
	v_add_f16_e32 v3, v6, v51
	v_fmamk_f16 v43, v20, 0x3b47, v41
	v_fmamk_f16 v88, v22, 0x3beb, v44
	;; [unrolled: 1-line block ×40, first 2 shown]
	v_fmac_f16_e32 v19, 0x3853, v20
	v_fmac_f16_e32 v21, 0xba0c, v22
	v_fmac_f16_e32 v23, 0x3b47, v24
	v_fmac_f16_e32 v25, 0xbbeb, v26
	v_fma_f16 v30, v29, 0x3abb, -v30
	v_fma_f16 v32, v31, 0xb93d, -v32
	v_fma_f16 v34, v33, 0x36a6, -v34
	v_fma_f16 v37, v35, 0xb08e, -v37
	v_fmac_f16_e32 v79, 0x3beb, v20
	v_fmac_f16_e32 v80, 0xb853, v22
	v_fmac_f16_e32 v81, 0xb482, v24
	v_fmac_f16_e32 v82, 0x3b47, v26
	v_fma_f16 v84, v29, 0xb08e, -v84
	v_fma_f16 v85, v31, 0x3abb, -v85
	v_fma_f16 v86, v33, 0xbbad, -v86
	v_fma_f16 v87, v35, 0x36a6, -v87
	;; [unrolled: 8-line block ×5, first 2 shown]
	v_add_f16_e32 v12, v36, v39
	v_add_f16_e32 v27, v0, v91
	;; [unrolled: 1-line block ×108, first 2 shown]
	v_pack_b32_f16 v0, v0, v29
	v_add_f16_e32 v1, v14, v1
	v_add_f16_e32 v2, v38, v2
	;; [unrolled: 1-line block ×4, first 2 shown]
	v_pack_b32_f16 v7, v7, v28
	v_pack_b32_f16 v17, v19, v17
	v_pack_b32_f16 v19, v27, v24
	v_pack_b32_f16 v13, v26, v25
	v_pack_b32_f16 v20, v22, v20
	v_pack_b32_f16 v21, v23, v21
	v_pack_b32_f16 v12, v18, v12
	v_pack_b32_f16 v5, v6, v5
	global_store_dword v[8:9], v0, off offset:440
	global_store_dword v[8:9], v7, off offset:880
	;; [unrolled: 1-line block ×5, first 2 shown]
	v_pack_b32_f16 v0, v1, v2
	v_pack_b32_f16 v3, v4, v3
	global_store_dword v[10:11], v19, off offset:592
	global_store_dword v[10:11], v20, off offset:1032
	;; [unrolled: 1-line block ×4, first 2 shown]
	global_store_dword v[8:9], v0, off
	global_store_dword v[15:16], v3, off offset:304
.LBB0_29:
	s_endpgm
	.section	.rodata,"a",@progbits
	.p2align	6, 0x0
	.amdhsa_kernel fft_rtc_fwd_len1210_factors_2_5_11_11_wgs_110_tpt_110_halfLds_half_op_CI_CI_unitstride_sbrr_dirReg
		.amdhsa_group_segment_fixed_size 0
		.amdhsa_private_segment_fixed_size 0
		.amdhsa_kernarg_size 104
		.amdhsa_user_sgpr_count 6
		.amdhsa_user_sgpr_private_segment_buffer 1
		.amdhsa_user_sgpr_dispatch_ptr 0
		.amdhsa_user_sgpr_queue_ptr 0
		.amdhsa_user_sgpr_kernarg_segment_ptr 1
		.amdhsa_user_sgpr_dispatch_id 0
		.amdhsa_user_sgpr_flat_scratch_init 0
		.amdhsa_user_sgpr_private_segment_size 0
		.amdhsa_wavefront_size32 1
		.amdhsa_uses_dynamic_stack 0
		.amdhsa_system_sgpr_private_segment_wavefront_offset 0
		.amdhsa_system_sgpr_workgroup_id_x 1
		.amdhsa_system_sgpr_workgroup_id_y 0
		.amdhsa_system_sgpr_workgroup_id_z 0
		.amdhsa_system_sgpr_workgroup_info 0
		.amdhsa_system_vgpr_workitem_id 0
		.amdhsa_next_free_vgpr 136
		.amdhsa_next_free_sgpr 27
		.amdhsa_reserve_vcc 1
		.amdhsa_reserve_flat_scratch 0
		.amdhsa_float_round_mode_32 0
		.amdhsa_float_round_mode_16_64 0
		.amdhsa_float_denorm_mode_32 3
		.amdhsa_float_denorm_mode_16_64 3
		.amdhsa_dx10_clamp 1
		.amdhsa_ieee_mode 1
		.amdhsa_fp16_overflow 0
		.amdhsa_workgroup_processor_mode 1
		.amdhsa_memory_ordered 1
		.amdhsa_forward_progress 0
		.amdhsa_shared_vgpr_count 0
		.amdhsa_exception_fp_ieee_invalid_op 0
		.amdhsa_exception_fp_denorm_src 0
		.amdhsa_exception_fp_ieee_div_zero 0
		.amdhsa_exception_fp_ieee_overflow 0
		.amdhsa_exception_fp_ieee_underflow 0
		.amdhsa_exception_fp_ieee_inexact 0
		.amdhsa_exception_int_div_zero 0
	.end_amdhsa_kernel
	.text
.Lfunc_end0:
	.size	fft_rtc_fwd_len1210_factors_2_5_11_11_wgs_110_tpt_110_halfLds_half_op_CI_CI_unitstride_sbrr_dirReg, .Lfunc_end0-fft_rtc_fwd_len1210_factors_2_5_11_11_wgs_110_tpt_110_halfLds_half_op_CI_CI_unitstride_sbrr_dirReg
                                        ; -- End function
	.section	.AMDGPU.csdata,"",@progbits
; Kernel info:
; codeLenInByte = 9616
; NumSgprs: 29
; NumVgprs: 136
; ScratchSize: 0
; MemoryBound: 0
; FloatMode: 240
; IeeeMode: 1
; LDSByteSize: 0 bytes/workgroup (compile time only)
; SGPRBlocks: 3
; VGPRBlocks: 16
; NumSGPRsForWavesPerEU: 29
; NumVGPRsForWavesPerEU: 136
; Occupancy: 7
; WaveLimiterHint : 1
; COMPUTE_PGM_RSRC2:SCRATCH_EN: 0
; COMPUTE_PGM_RSRC2:USER_SGPR: 6
; COMPUTE_PGM_RSRC2:TRAP_HANDLER: 0
; COMPUTE_PGM_RSRC2:TGID_X_EN: 1
; COMPUTE_PGM_RSRC2:TGID_Y_EN: 0
; COMPUTE_PGM_RSRC2:TGID_Z_EN: 0
; COMPUTE_PGM_RSRC2:TIDIG_COMP_CNT: 0
	.text
	.p2alignl 6, 3214868480
	.fill 48, 4, 3214868480
	.type	__hip_cuid_3fea3aa799690528,@object ; @__hip_cuid_3fea3aa799690528
	.section	.bss,"aw",@nobits
	.globl	__hip_cuid_3fea3aa799690528
__hip_cuid_3fea3aa799690528:
	.byte	0                               ; 0x0
	.size	__hip_cuid_3fea3aa799690528, 1

	.ident	"AMD clang version 19.0.0git (https://github.com/RadeonOpenCompute/llvm-project roc-6.4.0 25133 c7fe45cf4b819c5991fe208aaa96edf142730f1d)"
	.section	".note.GNU-stack","",@progbits
	.addrsig
	.addrsig_sym __hip_cuid_3fea3aa799690528
	.amdgpu_metadata
---
amdhsa.kernels:
  - .args:
      - .actual_access:  read_only
        .address_space:  global
        .offset:         0
        .size:           8
        .value_kind:     global_buffer
      - .offset:         8
        .size:           8
        .value_kind:     by_value
      - .actual_access:  read_only
        .address_space:  global
        .offset:         16
        .size:           8
        .value_kind:     global_buffer
      - .actual_access:  read_only
        .address_space:  global
        .offset:         24
        .size:           8
        .value_kind:     global_buffer
      - .actual_access:  read_only
        .address_space:  global
        .offset:         32
        .size:           8
        .value_kind:     global_buffer
      - .offset:         40
        .size:           8
        .value_kind:     by_value
      - .actual_access:  read_only
        .address_space:  global
        .offset:         48
        .size:           8
        .value_kind:     global_buffer
      - .actual_access:  read_only
        .address_space:  global
        .offset:         56
        .size:           8
        .value_kind:     global_buffer
      - .offset:         64
        .size:           4
        .value_kind:     by_value
      - .actual_access:  read_only
        .address_space:  global
        .offset:         72
        .size:           8
        .value_kind:     global_buffer
      - .actual_access:  read_only
        .address_space:  global
        .offset:         80
        .size:           8
        .value_kind:     global_buffer
      - .actual_access:  read_only
        .address_space:  global
        .offset:         88
        .size:           8
        .value_kind:     global_buffer
      - .actual_access:  write_only
        .address_space:  global
        .offset:         96
        .size:           8
        .value_kind:     global_buffer
    .group_segment_fixed_size: 0
    .kernarg_segment_align: 8
    .kernarg_segment_size: 104
    .language:       OpenCL C
    .language_version:
      - 2
      - 0
    .max_flat_workgroup_size: 110
    .name:           fft_rtc_fwd_len1210_factors_2_5_11_11_wgs_110_tpt_110_halfLds_half_op_CI_CI_unitstride_sbrr_dirReg
    .private_segment_fixed_size: 0
    .sgpr_count:     29
    .sgpr_spill_count: 0
    .symbol:         fft_rtc_fwd_len1210_factors_2_5_11_11_wgs_110_tpt_110_halfLds_half_op_CI_CI_unitstride_sbrr_dirReg.kd
    .uniform_work_group_size: 1
    .uses_dynamic_stack: false
    .vgpr_count:     136
    .vgpr_spill_count: 0
    .wavefront_size: 32
    .workgroup_processor_mode: 1
amdhsa.target:   amdgcn-amd-amdhsa--gfx1030
amdhsa.version:
  - 1
  - 2
...

	.end_amdgpu_metadata
